;; amdgpu-corpus repo=ROCm/rocFFT kind=compiled arch=gfx906 opt=O3
	.text
	.amdgcn_target "amdgcn-amd-amdhsa--gfx906"
	.amdhsa_code_object_version 6
	.protected	fft_rtc_back_len1815_factors_11_3_5_11_wgs_165_tpt_165_dp_op_CI_CI_unitstride_sbrr_dirReg ; -- Begin function fft_rtc_back_len1815_factors_11_3_5_11_wgs_165_tpt_165_dp_op_CI_CI_unitstride_sbrr_dirReg
	.globl	fft_rtc_back_len1815_factors_11_3_5_11_wgs_165_tpt_165_dp_op_CI_CI_unitstride_sbrr_dirReg
	.p2align	8
	.type	fft_rtc_back_len1815_factors_11_3_5_11_wgs_165_tpt_165_dp_op_CI_CI_unitstride_sbrr_dirReg,@function
fft_rtc_back_len1815_factors_11_3_5_11_wgs_165_tpt_165_dp_op_CI_CI_unitstride_sbrr_dirReg: ; @fft_rtc_back_len1815_factors_11_3_5_11_wgs_165_tpt_165_dp_op_CI_CI_unitstride_sbrr_dirReg
; %bb.0:
	s_load_dwordx4 s[8:11], s[4:5], 0x58
	s_load_dwordx4 s[12:15], s[4:5], 0x0
	;; [unrolled: 1-line block ×3, first 2 shown]
	v_mul_u32_u24_e32 v1, 0x18e, v0
	v_add_u32_sdwa v6, s6, v1 dst_sel:DWORD dst_unused:UNUSED_PAD src0_sel:DWORD src1_sel:WORD_1
	v_mov_b32_e32 v1, 0
	s_waitcnt lgkmcnt(0)
	v_cmp_lt_u64_e64 s[0:1], s[14:15], 2
	v_mov_b32_e32 v4, 0
	v_mov_b32_e32 v7, v1
	s_and_b64 vcc, exec, s[0:1]
	v_mov_b32_e32 v5, 0
	s_cbranch_vccnz .LBB0_8
; %bb.1:
	s_load_dwordx2 s[0:1], s[4:5], 0x10
	s_add_u32 s2, s18, 8
	s_addc_u32 s3, s19, 0
	s_add_u32 s6, s16, 8
	v_mov_b32_e32 v4, 0
	s_addc_u32 s7, s17, 0
	v_mov_b32_e32 v5, 0
	s_waitcnt lgkmcnt(0)
	s_add_u32 s20, s0, 8
	v_mov_b32_e32 v61, v5
	s_addc_u32 s21, s1, 0
	s_mov_b64 s[22:23], 1
	v_mov_b32_e32 v60, v4
.LBB0_2:                                ; =>This Inner Loop Header: Depth=1
	s_load_dwordx2 s[24:25], s[20:21], 0x0
                                        ; implicit-def: $vgpr62_vgpr63
	s_waitcnt lgkmcnt(0)
	v_or_b32_e32 v2, s25, v7
	v_cmp_ne_u64_e32 vcc, 0, v[1:2]
	s_and_saveexec_b64 s[0:1], vcc
	s_xor_b64 s[26:27], exec, s[0:1]
	s_cbranch_execz .LBB0_4
; %bb.3:                                ;   in Loop: Header=BB0_2 Depth=1
	v_cvt_f32_u32_e32 v2, s24
	v_cvt_f32_u32_e32 v3, s25
	s_sub_u32 s0, 0, s24
	s_subb_u32 s1, 0, s25
	v_mac_f32_e32 v2, 0x4f800000, v3
	v_rcp_f32_e32 v2, v2
	v_mul_f32_e32 v2, 0x5f7ffffc, v2
	v_mul_f32_e32 v3, 0x2f800000, v2
	v_trunc_f32_e32 v3, v3
	v_mac_f32_e32 v2, 0xcf800000, v3
	v_cvt_u32_f32_e32 v3, v3
	v_cvt_u32_f32_e32 v2, v2
	v_mul_lo_u32 v8, s0, v3
	v_mul_hi_u32 v9, s0, v2
	v_mul_lo_u32 v11, s1, v2
	v_mul_lo_u32 v10, s0, v2
	v_add_u32_e32 v8, v9, v8
	v_add_u32_e32 v8, v8, v11
	v_mul_hi_u32 v9, v2, v10
	v_mul_lo_u32 v11, v2, v8
	v_mul_hi_u32 v13, v2, v8
	v_mul_hi_u32 v12, v3, v10
	v_mul_lo_u32 v10, v3, v10
	v_mul_hi_u32 v14, v3, v8
	v_add_co_u32_e32 v9, vcc, v9, v11
	v_addc_co_u32_e32 v11, vcc, 0, v13, vcc
	v_mul_lo_u32 v8, v3, v8
	v_add_co_u32_e32 v9, vcc, v9, v10
	v_addc_co_u32_e32 v9, vcc, v11, v12, vcc
	v_addc_co_u32_e32 v10, vcc, 0, v14, vcc
	v_add_co_u32_e32 v8, vcc, v9, v8
	v_addc_co_u32_e32 v9, vcc, 0, v10, vcc
	v_add_co_u32_e32 v2, vcc, v2, v8
	v_addc_co_u32_e32 v3, vcc, v3, v9, vcc
	v_mul_lo_u32 v8, s0, v3
	v_mul_hi_u32 v9, s0, v2
	v_mul_lo_u32 v10, s1, v2
	v_mul_lo_u32 v11, s0, v2
	v_add_u32_e32 v8, v9, v8
	v_add_u32_e32 v8, v8, v10
	v_mul_lo_u32 v12, v2, v8
	v_mul_hi_u32 v13, v2, v11
	v_mul_hi_u32 v14, v2, v8
	v_mul_hi_u32 v10, v3, v11
	v_mul_lo_u32 v11, v3, v11
	v_mul_hi_u32 v9, v3, v8
	v_add_co_u32_e32 v12, vcc, v13, v12
	v_addc_co_u32_e32 v13, vcc, 0, v14, vcc
	v_mul_lo_u32 v8, v3, v8
	v_add_co_u32_e32 v11, vcc, v12, v11
	v_addc_co_u32_e32 v10, vcc, v13, v10, vcc
	v_addc_co_u32_e32 v9, vcc, 0, v9, vcc
	v_add_co_u32_e32 v8, vcc, v10, v8
	v_addc_co_u32_e32 v9, vcc, 0, v9, vcc
	v_add_co_u32_e32 v8, vcc, v2, v8
	v_addc_co_u32_e32 v9, vcc, v3, v9, vcc
	v_mad_u64_u32 v[2:3], s[0:1], v6, v9, 0
	v_mul_hi_u32 v10, v6, v8
	v_add_co_u32_e32 v10, vcc, v10, v2
	v_addc_co_u32_e32 v11, vcc, 0, v3, vcc
	v_mad_u64_u32 v[2:3], s[0:1], v7, v8, 0
	v_mad_u64_u32 v[8:9], s[0:1], v7, v9, 0
	v_add_co_u32_e32 v2, vcc, v10, v2
	v_addc_co_u32_e32 v2, vcc, v11, v3, vcc
	v_addc_co_u32_e32 v3, vcc, 0, v9, vcc
	v_add_co_u32_e32 v8, vcc, v2, v8
	v_addc_co_u32_e32 v9, vcc, 0, v3, vcc
	v_mul_lo_u32 v10, s25, v8
	v_mul_lo_u32 v11, s24, v9
	v_mad_u64_u32 v[2:3], s[0:1], s24, v8, 0
	v_add3_u32 v3, v3, v11, v10
	v_sub_u32_e32 v10, v7, v3
	v_mov_b32_e32 v11, s25
	v_sub_co_u32_e32 v2, vcc, v6, v2
	v_subb_co_u32_e64 v10, s[0:1], v10, v11, vcc
	v_subrev_co_u32_e64 v11, s[0:1], s24, v2
	v_subbrev_co_u32_e64 v10, s[0:1], 0, v10, s[0:1]
	v_cmp_le_u32_e64 s[0:1], s25, v10
	v_cndmask_b32_e64 v12, 0, -1, s[0:1]
	v_cmp_le_u32_e64 s[0:1], s24, v11
	v_cndmask_b32_e64 v11, 0, -1, s[0:1]
	v_cmp_eq_u32_e64 s[0:1], s25, v10
	v_cndmask_b32_e64 v10, v12, v11, s[0:1]
	v_add_co_u32_e64 v11, s[0:1], 2, v8
	v_addc_co_u32_e64 v12, s[0:1], 0, v9, s[0:1]
	v_add_co_u32_e64 v13, s[0:1], 1, v8
	v_addc_co_u32_e64 v14, s[0:1], 0, v9, s[0:1]
	v_subb_co_u32_e32 v3, vcc, v7, v3, vcc
	v_cmp_ne_u32_e64 s[0:1], 0, v10
	v_cmp_le_u32_e32 vcc, s25, v3
	v_cndmask_b32_e64 v10, v14, v12, s[0:1]
	v_cndmask_b32_e64 v12, 0, -1, vcc
	v_cmp_le_u32_e32 vcc, s24, v2
	v_cndmask_b32_e64 v2, 0, -1, vcc
	v_cmp_eq_u32_e32 vcc, s25, v3
	v_cndmask_b32_e32 v2, v12, v2, vcc
	v_cmp_ne_u32_e32 vcc, 0, v2
	v_cndmask_b32_e64 v2, v13, v11, s[0:1]
	v_cndmask_b32_e32 v63, v9, v10, vcc
	v_cndmask_b32_e32 v62, v8, v2, vcc
.LBB0_4:                                ;   in Loop: Header=BB0_2 Depth=1
	s_andn2_saveexec_b64 s[0:1], s[26:27]
	s_cbranch_execz .LBB0_6
; %bb.5:                                ;   in Loop: Header=BB0_2 Depth=1
	v_cvt_f32_u32_e32 v2, s24
	s_sub_i32 s26, 0, s24
	v_mov_b32_e32 v63, v1
	v_rcp_iflag_f32_e32 v2, v2
	v_mul_f32_e32 v2, 0x4f7ffffe, v2
	v_cvt_u32_f32_e32 v2, v2
	v_mul_lo_u32 v3, s26, v2
	v_mul_hi_u32 v3, v2, v3
	v_add_u32_e32 v2, v2, v3
	v_mul_hi_u32 v2, v6, v2
	v_mul_lo_u32 v3, v2, s24
	v_add_u32_e32 v8, 1, v2
	v_sub_u32_e32 v3, v6, v3
	v_subrev_u32_e32 v9, s24, v3
	v_cmp_le_u32_e32 vcc, s24, v3
	v_cndmask_b32_e32 v3, v3, v9, vcc
	v_cndmask_b32_e32 v2, v2, v8, vcc
	v_add_u32_e32 v8, 1, v2
	v_cmp_le_u32_e32 vcc, s24, v3
	v_cndmask_b32_e32 v62, v2, v8, vcc
.LBB0_6:                                ;   in Loop: Header=BB0_2 Depth=1
	s_or_b64 exec, exec, s[0:1]
	v_mul_lo_u32 v8, v63, s24
	v_mul_lo_u32 v9, v62, s25
	v_mad_u64_u32 v[2:3], s[0:1], v62, s24, 0
	s_load_dwordx2 s[0:1], s[6:7], 0x0
	s_load_dwordx2 s[24:25], s[2:3], 0x0
	v_add3_u32 v3, v3, v9, v8
	v_sub_co_u32_e32 v2, vcc, v6, v2
	v_subb_co_u32_e32 v3, vcc, v7, v3, vcc
	s_waitcnt lgkmcnt(0)
	v_mul_lo_u32 v6, s0, v3
	v_mul_lo_u32 v7, s1, v2
	v_mad_u64_u32 v[4:5], s[0:1], s0, v2, v[4:5]
	v_mul_lo_u32 v3, s24, v3
	v_mul_lo_u32 v8, s25, v2
	v_mad_u64_u32 v[60:61], s[0:1], s24, v2, v[60:61]
	s_add_u32 s22, s22, 1
	s_addc_u32 s23, s23, 0
	s_add_u32 s2, s2, 8
	v_add3_u32 v61, v8, v61, v3
	s_addc_u32 s3, s3, 0
	v_mov_b32_e32 v2, s14
	s_add_u32 s6, s6, 8
	v_mov_b32_e32 v3, s15
	s_addc_u32 s7, s7, 0
	v_cmp_ge_u64_e32 vcc, s[22:23], v[2:3]
	s_add_u32 s20, s20, 8
	v_add3_u32 v5, v7, v5, v6
	s_addc_u32 s21, s21, 0
	s_cbranch_vccnz .LBB0_9
; %bb.7:                                ;   in Loop: Header=BB0_2 Depth=1
	v_mov_b32_e32 v6, v62
	v_mov_b32_e32 v7, v63
	s_branch .LBB0_2
.LBB0_8:
	v_mov_b32_e32 v61, v5
	v_mov_b32_e32 v63, v7
	;; [unrolled: 1-line block ×4, first 2 shown]
.LBB0_9:
	s_load_dwordx2 s[4:5], s[4:5], 0x28
	s_lshl_b64 s[6:7], s[14:15], 3
	s_add_u32 s2, s18, s6
	s_addc_u32 s3, s19, s7
                                        ; implicit-def: $sgpr14_sgpr15
                                        ; implicit-def: $vgpr66
	s_waitcnt lgkmcnt(0)
	v_cmp_gt_u64_e64 s[0:1], s[4:5], v[62:63]
	v_cmp_le_u64_e32 vcc, s[4:5], v[62:63]
	s_and_saveexec_b64 s[4:5], vcc
	s_xor_b64 s[4:5], exec, s[4:5]
; %bb.10:
	s_mov_b32 s14, 0x18d3019
	v_mul_hi_u32 v1, v0, s14
	s_mov_b64 s[14:15], 0
                                        ; implicit-def: $vgpr4_vgpr5
	v_mul_u32_u24_e32 v1, 0xa5, v1
	v_sub_u32_e32 v66, v0, v1
                                        ; implicit-def: $vgpr0
; %bb.11:
	s_or_saveexec_b64 s[4:5], s[4:5]
	v_mov_b32_e32 v65, s15
	v_mov_b32_e32 v64, s14
                                        ; implicit-def: $vgpr6_vgpr7
                                        ; implicit-def: $vgpr10_vgpr11
                                        ; implicit-def: $vgpr14_vgpr15
                                        ; implicit-def: $vgpr26_vgpr27
                                        ; implicit-def: $vgpr22_vgpr23
                                        ; implicit-def: $vgpr18_vgpr19
                                        ; implicit-def: $vgpr34_vgpr35
                                        ; implicit-def: $vgpr38_vgpr39
                                        ; implicit-def: $vgpr30_vgpr31
                                        ; implicit-def: $vgpr42_vgpr43
                                        ; implicit-def: $vgpr2_vgpr3
	s_xor_b64 exec, exec, s[4:5]
	s_cbranch_execz .LBB0_13
; %bb.12:
	s_add_u32 s6, s16, s6
	s_addc_u32 s7, s17, s7
	s_load_dwordx2 s[6:7], s[6:7], 0x0
	s_mov_b32 s14, 0x18d3019
	v_mul_hi_u32 v3, v0, s14
	v_mov_b32_e32 v67, 0
	s_waitcnt lgkmcnt(0)
	v_mul_lo_u32 v6, s7, v62
	v_mul_lo_u32 v7, s6, v63
	v_mad_u64_u32 v[1:2], s[6:7], s6, v62, 0
	v_mul_u32_u24_e32 v3, 0xa5, v3
	v_sub_u32_e32 v66, v0, v3
	v_add3_u32 v2, v2, v7, v6
	v_lshlrev_b64 v[0:1], 4, v[1:2]
	v_mov_b32_e32 v2, s9
	v_add_co_u32_e32 v3, vcc, s8, v0
	v_addc_co_u32_e32 v2, vcc, v2, v1, vcc
	v_lshlrev_b64 v[0:1], 4, v[4:5]
	s_movk_i32 s6, 0x1000
	v_add_co_u32_e32 v0, vcc, v3, v0
	v_addc_co_u32_e32 v1, vcc, v2, v1, vcc
	v_lshlrev_b32_e32 v2, 4, v66
	v_add_co_u32_e32 v4, vcc, v0, v2
	v_addc_co_u32_e32 v5, vcc, 0, v1, vcc
	v_add_co_u32_e32 v44, vcc, s6, v4
	v_addc_co_u32_e32 v45, vcc, 0, v5, vcc
	s_movk_i32 s6, 0x2000
	v_add_co_u32_e32 v46, vcc, s6, v4
	v_addc_co_u32_e32 v47, vcc, 0, v5, vcc
	s_movk_i32 s6, 0x3000
	;; [unrolled: 3-line block ×4, first 2 shown]
	v_add_co_u32_e32 v52, vcc, s6, v4
	v_addc_co_u32_e32 v53, vcc, 0, v5, vcc
	v_add_co_u32_e32 v54, vcc, 0x6000, v4
	global_load_dwordx4 v[0:3], v[4:5], off
	global_load_dwordx4 v[40:43], v[4:5], off offset:2640
	v_addc_co_u32_e32 v55, vcc, 0, v5, vcc
	global_load_dwordx4 v[28:31], v[44:45], off offset:1184
	global_load_dwordx4 v[36:39], v[44:45], off offset:3824
	;; [unrolled: 1-line block ×9, first 2 shown]
	v_mov_b32_e32 v64, v66
	v_mov_b32_e32 v65, v67
.LBB0_13:
	s_or_b64 exec, exec, s[4:5]
	s_waitcnt vmcnt(9)
	v_add_f64 v[44:45], v[40:41], v[0:1]
	v_add_f64 v[46:47], v[42:43], v[2:3]
	s_waitcnt vmcnt(0)
	v_add_f64 v[48:49], v[4:5], v[40:41]
	v_add_f64 v[50:51], v[6:7], v[42:43]
	v_add_f64 v[52:53], v[40:41], -v[4:5]
	v_add_f64 v[54:55], v[42:43], -v[6:7]
	v_add_f64 v[56:57], v[24:25], v[32:33]
	v_add_f64 v[58:59], v[26:27], v[34:35]
	;; [unrolled: 1-line block ×4, first 2 shown]
	s_mov_b32 s18, 0xf8bb580b
	s_mov_b32 s8, 0x43842ef
	;; [unrolled: 1-line block ×6, first 2 shown]
	v_add_f64 v[40:41], v[36:37], v[40:41]
	v_add_f64 v[42:43], v[38:39], v[42:43]
	s_mov_b32 s14, 0x8eee2c13
	s_mov_b32 s9, 0xbfefac9e
	;; [unrolled: 1-line block ×4, first 2 shown]
	v_add_f64 v[67:68], v[8:9], v[28:29]
	v_add_f64 v[69:70], v[10:11], v[30:31]
	;; [unrolled: 1-line block ×4, first 2 shown]
	v_add_f64 v[32:33], v[32:33], -v[24:25]
	v_add_f64 v[34:35], v[34:35], -v[26:27]
	v_add_f64 v[40:41], v[12:13], v[36:37]
	v_add_f64 v[36:37], v[36:37], -v[12:13]
	v_add_f64 v[28:29], v[28:29], -v[8:9]
	;; [unrolled: 1-line block ×3, first 2 shown]
	v_add_f64 v[44:45], v[16:17], v[44:45]
	v_add_f64 v[46:47], v[18:19], v[42:43]
	v_add_f64 v[42:43], v[14:15], v[38:39]
	v_add_f64 v[38:39], v[38:39], -v[14:15]
	v_add_f64 v[71:72], v[20:21], v[16:17]
	v_add_f64 v[73:74], v[18:19], -v[22:23]
	s_mov_b32 s16, 0x8764f0ba
	s_mov_b32 s4, 0xd9c712b6
	v_add_f64 v[44:45], v[20:21], v[44:45]
	v_add_f64 v[46:47], v[22:23], v[46:47]
	s_mov_b32 s6, 0x640f44db
	s_mov_b32 s20, 0x7f775887
	;; [unrolled: 1-line block ×6, first 2 shown]
	v_add_f64 v[24:25], v[24:25], v[44:45]
	v_add_f64 v[26:27], v[26:27], v[46:47]
	;; [unrolled: 1-line block ×3, first 2 shown]
	v_add_f64 v[46:47], v[16:17], -v[20:21]
	v_mul_f64 v[16:17], v[54:55], s[18:19]
	v_mul_f64 v[18:19], v[54:55], s[14:15]
	;; [unrolled: 1-line block ×4, first 2 shown]
	v_add_f64 v[12:13], v[12:13], v[24:25]
	v_add_f64 v[14:15], v[14:15], v[26:27]
	v_mul_f64 v[24:25], v[54:55], s[24:25]
	v_mul_f64 v[26:27], v[52:53], s[18:19]
	s_mov_b32 s21, 0xbfe4f49e
	s_mov_b32 s27, 0xbfeeb42a
	v_fma_f64 v[54:55], v[48:49], s[16:17], v[16:17]
	v_fma_f64 v[75:76], v[48:49], s[20:21], v[22:23]
	v_add_f64 v[8:9], v[8:9], v[12:13]
	v_add_f64 v[10:11], v[10:11], v[14:15]
	v_fma_f64 v[12:13], v[48:49], s[16:17], -v[16:17]
	v_fma_f64 v[14:15], v[48:49], s[4:5], v[18:19]
	v_fma_f64 v[16:17], v[48:49], s[4:5], -v[18:19]
	v_fma_f64 v[18:19], v[48:49], s[6:7], v[20:21]
	v_fma_f64 v[20:21], v[48:49], s[6:7], -v[20:21]
	v_mul_f64 v[77:78], v[52:53], s[8:9]
	v_add_f64 v[4:5], v[4:5], v[8:9]
	v_add_f64 v[6:7], v[6:7], v[10:11]
	v_fma_f64 v[8:9], v[48:49], s[20:21], -v[22:23]
	v_mul_f64 v[10:11], v[52:53], s[14:15]
	v_fma_f64 v[22:23], v[48:49], s[26:27], v[24:25]
	v_fma_f64 v[24:25], v[48:49], s[26:27], -v[24:25]
	v_mul_f64 v[48:49], v[52:53], s[22:23]
	v_mul_f64 v[52:53], v[52:53], s[24:25]
	v_fma_f64 v[79:80], v[50:51], s[16:17], -v[26:27]
	v_fma_f64 v[26:27], v[50:51], s[16:17], v[26:27]
	v_fma_f64 v[83:84], v[50:51], s[6:7], -v[77:78]
	v_fma_f64 v[81:82], v[50:51], s[4:5], -v[10:11]
	v_fma_f64 v[10:11], v[50:51], s[4:5], v[10:11]
	v_fma_f64 v[77:78], v[50:51], s[6:7], v[77:78]
	v_fma_f64 v[85:86], v[50:51], s[20:21], -v[48:49]
	v_fma_f64 v[48:49], v[50:51], s[20:21], v[48:49]
	v_fma_f64 v[87:88], v[50:51], s[26:27], -v[52:53]
	v_fma_f64 v[50:51], v[50:51], s[26:27], v[52:53]
	v_add_f64 v[52:53], v[0:1], v[54:55]
	v_add_f64 v[54:55], v[2:3], v[79:80]
	v_mul_f64 v[79:80], v[30:31], s[14:15]
	v_mul_f64 v[89:90], v[28:29], s[14:15]
	v_add_f64 v[91:92], v[0:1], v[16:17]
	v_mul_f64 v[95:96], v[38:39], s[8:9]
	v_mul_f64 v[97:98], v[36:37], s[8:9]
	;; [unrolled: 1-line block ×3, first 2 shown]
	v_add_f64 v[103:104], v[0:1], v[8:9]
	v_add_f64 v[12:13], v[0:1], v[12:13]
	v_fma_f64 v[16:17], v[67:68], s[4:5], v[79:80]
	v_fma_f64 v[93:94], v[69:70], s[4:5], -v[89:90]
	v_add_f64 v[26:27], v[2:3], v[26:27]
	v_add_f64 v[14:15], v[0:1], v[14:15]
	v_fma_f64 v[99:100], v[42:43], s[6:7], -v[97:98]
	v_add_f64 v[81:82], v[2:3], v[81:82]
	v_add_f64 v[10:11], v[2:3], v[10:11]
	;; [unrolled: 1-line block ×5, first 2 shown]
	v_fma_f64 v[54:55], v[40:41], s[6:7], v[95:96]
	v_mul_f64 v[93:94], v[34:35], s[22:23]
	v_add_f64 v[83:84], v[2:3], v[83:84]
	v_add_f64 v[20:21], v[0:1], v[20:21]
	;; [unrolled: 1-line block ×7, first 2 shown]
	v_fma_f64 v[16:17], v[56:57], s[20:21], v[93:94]
	v_add_f64 v[105:106], v[0:1], v[22:23]
	v_add_f64 v[87:88], v[2:3], v[87:88]
	;; [unrolled: 1-line block ×3, first 2 shown]
	v_fma_f64 v[52:53], v[58:59], s[20:21], -v[101:102]
	v_mul_f64 v[54:55], v[73:74], s[24:25]
	v_add_f64 v[99:100], v[0:1], v[24:25]
	v_fma_f64 v[0:1], v[67:68], s[4:5], -v[79:80]
	v_fma_f64 v[24:25], v[69:70], s[4:5], v[89:90]
	v_add_f64 v[50:51], v[2:3], v[50:51]
	v_add_f64 v[2:3], v[16:17], v[8:9]
	v_mul_f64 v[8:9], v[30:31], s[22:23]
	s_mov_b32 s35, 0x3fd207e7
	s_mov_b32 s34, s24
	v_add_f64 v[16:17], v[52:53], v[22:23]
	v_fma_f64 v[22:23], v[71:72], s[26:27], v[54:55]
	v_add_f64 v[0:1], v[0:1], v[12:13]
	v_add_f64 v[24:25], v[24:25], v[26:27]
	v_fma_f64 v[26:27], v[40:41], s[6:7], -v[95:96]
	v_fma_f64 v[79:80], v[42:43], s[6:7], v[97:98]
	v_fma_f64 v[89:90], v[67:68], s[20:21], v[8:9]
	v_mul_f64 v[95:96], v[28:29], s[22:23]
	v_mul_f64 v[97:98], v[38:39], s[34:35]
	v_add_f64 v[12:13], v[22:23], v[2:3]
	s_mov_b32 s31, 0x3fefac9e
	s_mov_b32 s30, s8
	v_add_f64 v[0:1], v[26:27], v[0:1]
	v_add_f64 v[22:23], v[79:80], v[24:25]
	v_fma_f64 v[24:25], v[56:57], s[20:21], -v[93:94]
	v_add_f64 v[14:15], v[89:90], v[14:15]
	v_fma_f64 v[26:27], v[69:70], s[20:21], -v[95:96]
	v_fma_f64 v[79:80], v[40:41], s[26:27], v[97:98]
	v_mul_f64 v[89:90], v[36:37], s[34:35]
	v_mul_f64 v[52:53], v[46:47], s[24:25]
	;; [unrolled: 1-line block ×3, first 2 shown]
	s_mov_b32 s29, 0x3fe14ced
	v_add_f64 v[0:1], v[24:25], v[0:1]
	v_fma_f64 v[24:25], v[58:59], s[20:21], v[101:102]
	v_add_f64 v[26:27], v[26:27], v[81:82]
	v_add_f64 v[79:80], v[79:80], v[14:15]
	v_fma_f64 v[14:15], v[42:43], s[26:27], -v[89:90]
	v_mul_f64 v[81:82], v[32:33], s[30:31]
	s_mov_b32 s28, s18
	v_fma_f64 v[2:3], v[44:45], s[26:27], -v[52:53]
	v_fma_f64 v[54:55], v[71:72], s[26:27], -v[54:55]
	v_fma_f64 v[101:102], v[56:57], s[6:7], v[93:94]
	v_mul_f64 v[107:108], v[73:74], s[28:29]
	v_add_f64 v[22:23], v[24:25], v[22:23]
	v_fma_f64 v[24:25], v[44:45], s[26:27], v[52:53]
	v_add_f64 v[26:27], v[14:15], v[26:27]
	v_fma_f64 v[52:53], v[58:59], s[6:7], -v[81:82]
	v_add_f64 v[14:15], v[2:3], v[16:17]
	v_add_f64 v[0:1], v[54:55], v[0:1]
	;; [unrolled: 1-line block ×3, first 2 shown]
	v_fma_f64 v[54:55], v[71:72], s[16:17], v[107:108]
	v_fma_f64 v[8:9], v[67:68], s[20:21], -v[8:9]
	v_fma_f64 v[79:80], v[69:70], s[20:21], v[95:96]
	v_add_f64 v[2:3], v[24:25], v[22:23]
	v_add_f64 v[22:23], v[52:53], v[26:27]
	v_mul_f64 v[26:27], v[30:31], s[34:35]
	v_mul_f64 v[52:53], v[28:29], s[34:35]
	s_mov_b32 s15, 0x3fed1bb4
	v_add_f64 v[16:17], v[54:55], v[16:17]
	v_add_f64 v[8:9], v[8:9], v[91:92]
	;; [unrolled: 1-line block ×3, first 2 shown]
	v_fma_f64 v[54:55], v[40:41], s[26:27], -v[97:98]
	v_fma_f64 v[79:80], v[42:43], s[26:27], v[89:90]
	v_fma_f64 v[91:92], v[67:68], s[26:27], v[26:27]
	v_fma_f64 v[95:96], v[69:70], s[26:27], -v[52:53]
	v_mul_f64 v[97:98], v[38:39], s[14:15]
	v_mul_f64 v[24:25], v[46:47], s[28:29]
	;; [unrolled: 1-line block ×4, first 2 shown]
	v_add_f64 v[8:9], v[54:55], v[8:9]
	v_add_f64 v[10:11], v[79:80], v[10:11]
	v_fma_f64 v[54:55], v[56:57], s[6:7], -v[93:94]
	v_fma_f64 v[79:80], v[58:59], s[6:7], v[81:82]
	v_add_f64 v[18:19], v[91:92], v[18:19]
	v_add_f64 v[81:82], v[95:96], v[83:84]
	v_fma_f64 v[83:84], v[40:41], s[4:5], v[97:98]
	v_mul_f64 v[93:94], v[34:35], s[18:19]
	v_fma_f64 v[89:90], v[44:45], s[16:17], -v[24:25]
	v_fma_f64 v[91:92], v[42:43], s[4:5], -v[101:102]
	v_mul_f64 v[95:96], v[32:33], s[18:19]
	v_add_f64 v[8:9], v[54:55], v[8:9]
	v_add_f64 v[10:11], v[79:80], v[10:11]
	v_fma_f64 v[54:55], v[71:72], s[16:17], -v[107:108]
	v_fma_f64 v[24:25], v[44:45], s[16:17], v[24:25]
	v_add_f64 v[79:80], v[83:84], v[18:19]
	v_fma_f64 v[83:84], v[56:57], s[16:17], v[93:94]
	v_mul_f64 v[107:108], v[73:74], s[22:23]
	v_add_f64 v[81:82], v[91:92], v[81:82]
	v_fma_f64 v[91:92], v[58:59], s[16:17], -v[95:96]
	v_add_f64 v[18:19], v[89:90], v[22:23]
	v_fma_f64 v[22:23], v[67:68], s[26:27], -v[26:27]
	v_add_f64 v[8:9], v[54:55], v[8:9]
	v_add_f64 v[10:11], v[24:25], v[10:11]
	v_fma_f64 v[24:25], v[69:70], s[26:27], v[52:53]
	v_add_f64 v[26:27], v[83:84], v[79:80]
	v_fma_f64 v[54:55], v[71:72], s[20:21], v[107:108]
	v_mul_f64 v[79:80], v[30:31], s[30:31]
	v_add_f64 v[52:53], v[91:92], v[81:82]
	v_add_f64 v[22:23], v[22:23], v[20:21]
	v_fma_f64 v[81:82], v[40:41], s[4:5], -v[97:98]
	v_mul_f64 v[89:90], v[28:29], s[30:31]
	v_add_f64 v[24:25], v[24:25], v[77:78]
	v_fma_f64 v[77:78], v[42:43], s[4:5], v[101:102]
	v_add_f64 v[20:21], v[54:55], v[26:27]
	v_fma_f64 v[26:27], v[67:68], s[6:7], v[79:80]
	v_mul_f64 v[54:55], v[38:39], s[18:19]
	v_mul_f64 v[83:84], v[46:47], s[22:23]
	v_add_f64 v[22:23], v[81:82], v[22:23]
	v_fma_f64 v[81:82], v[56:57], s[16:17], -v[93:94]
	v_mul_f64 v[93:94], v[36:37], s[18:19]
	v_add_f64 v[24:25], v[77:78], v[24:25]
	v_fma_f64 v[77:78], v[69:70], s[6:7], -v[89:90]
	v_add_f64 v[26:27], v[26:27], v[75:76]
	v_fma_f64 v[75:76], v[40:41], s[16:17], v[54:55]
	v_mul_f64 v[97:98], v[34:35], s[24:25]
	v_fma_f64 v[91:92], v[44:45], s[20:21], -v[83:84]
	v_add_f64 v[81:82], v[81:82], v[22:23]
	v_fma_f64 v[95:96], v[58:59], s[16:17], v[95:96]
	v_fma_f64 v[101:102], v[71:72], s[20:21], -v[107:108]
	v_add_f64 v[77:78], v[77:78], v[85:86]
	v_fma_f64 v[85:86], v[42:43], s[16:17], -v[93:94]
	v_mul_f64 v[107:108], v[32:33], s[24:25]
	v_add_f64 v[26:27], v[75:76], v[26:27]
	v_fma_f64 v[75:76], v[56:57], s[26:27], v[97:98]
	v_add_f64 v[22:23], v[91:92], v[52:53]
	v_add_f64 v[52:53], v[95:96], v[24:25]
	v_fma_f64 v[83:84], v[44:45], s[20:21], v[83:84]
	v_add_f64 v[24:25], v[101:102], v[81:82]
	v_add_f64 v[77:78], v[85:86], v[77:78]
	v_fma_f64 v[85:86], v[58:59], s[26:27], -v[107:108]
	v_fma_f64 v[81:82], v[71:72], s[4:5], v[109:110]
	v_add_f64 v[75:76], v[75:76], v[26:27]
	v_mul_f64 v[30:31], v[30:31], s[28:29]
	v_mul_f64 v[95:96], v[28:29], s[28:29]
	v_add_f64 v[26:27], v[83:84], v[52:53]
	v_mul_f64 v[38:39], v[38:39], s[22:23]
	v_mul_f64 v[36:37], v[36:37], s[22:23]
	v_add_f64 v[52:53], v[85:86], v[77:78]
	v_fma_f64 v[77:78], v[67:68], s[6:7], -v[79:80]
	v_fma_f64 v[79:80], v[69:70], s[6:7], v[89:90]
	v_add_f64 v[28:29], v[81:82], v[75:76]
	v_fma_f64 v[81:82], v[67:68], s[16:17], v[30:31]
	v_fma_f64 v[83:84], v[69:70], s[16:17], -v[95:96]
	v_fma_f64 v[30:31], v[67:68], s[16:17], -v[30:31]
	v_fma_f64 v[67:68], v[69:70], s[16:17], v[95:96]
	v_fma_f64 v[54:55], v[40:41], s[16:17], -v[54:55]
	v_add_f64 v[69:70], v[77:78], v[103:104]
	v_add_f64 v[48:49], v[79:80], v[48:49]
	v_mul_f64 v[34:35], v[34:35], s[14:15]
	v_add_f64 v[77:78], v[81:82], v[105:106]
	v_add_f64 v[79:80], v[83:84], v[87:88]
	v_fma_f64 v[81:82], v[42:43], s[16:17], v[93:94]
	v_add_f64 v[30:31], v[30:31], v[99:100]
	v_add_f64 v[50:51], v[67:68], v[50:51]
	v_fma_f64 v[67:68], v[40:41], s[20:21], v[38:39]
	v_fma_f64 v[83:84], v[42:43], s[20:21], -v[36:37]
	v_fma_f64 v[38:39], v[40:41], s[20:21], -v[38:39]
	v_fma_f64 v[36:37], v[42:43], s[20:21], v[36:37]
	v_mul_f64 v[32:33], v[32:33], s[14:15]
	v_mul_f64 v[91:92], v[46:47], s[14:15]
	v_add_f64 v[40:41], v[54:55], v[69:70]
	v_add_f64 v[42:43], v[81:82], v[48:49]
	;; [unrolled: 1-line block ×4, first 2 shown]
	v_fma_f64 v[67:68], v[56:57], s[26:27], -v[97:98]
	v_add_f64 v[30:31], v[38:39], v[30:31]
	v_add_f64 v[36:37], v[36:37], v[50:51]
	v_fma_f64 v[38:39], v[56:57], s[4:5], v[34:35]
	v_fma_f64 v[50:51], v[58:59], s[4:5], -v[32:33]
	v_fma_f64 v[34:35], v[56:57], s[4:5], -v[34:35]
	v_fma_f64 v[32:33], v[58:59], s[4:5], v[32:33]
	v_mul_f64 v[56:57], v[73:74], s[8:9]
	v_mul_f64 v[46:47], v[46:47], s[8:9]
	v_fma_f64 v[69:70], v[58:59], s[26:27], v[107:108]
	v_fma_f64 v[75:76], v[44:45], s[4:5], -v[91:92]
	v_add_f64 v[38:39], v[38:39], v[48:49]
	v_add_f64 v[48:49], v[50:51], v[54:55]
	;; [unrolled: 1-line block ×4, first 2 shown]
	v_fma_f64 v[36:37], v[71:72], s[6:7], v[56:57]
	v_fma_f64 v[58:59], v[44:45], s[6:7], -v[46:47]
	v_add_f64 v[42:43], v[69:70], v[42:43]
	v_add_f64 v[50:51], v[34:35], v[30:31]
	v_fma_f64 v[32:33], v[71:72], s[4:5], -v[109:110]
	v_fma_f64 v[34:35], v[44:45], s[4:5], v[91:92]
	v_fma_f64 v[56:57], v[71:72], s[6:7], -v[56:57]
	v_fma_f64 v[44:45], v[44:45], s[6:7], v[46:47]
	v_add_f64 v[30:31], v[75:76], v[52:53]
	v_add_f64 v[36:37], v[36:37], v[38:39]
	;; [unrolled: 1-line block ×3, first 2 shown]
	s_movk_i32 s4, 0xb0
	v_add_f64 v[32:33], v[32:33], v[40:41]
	v_add_f64 v[34:35], v[34:35], v[42:43]
	;; [unrolled: 1-line block ×4, first 2 shown]
	v_mad_u32_u24 v44, v66, s4, 0
	s_movk_i32 s4, 0xff60
	v_mad_i32_i24 v67, v66, s4, v44
	s_load_dwordx2 s[2:3], s[2:3], 0x0
	ds_write_b128 v44, v[4:7]
	ds_write_b128 v44, v[12:15] offset:16
	ds_write_b128 v44, v[16:19] offset:32
	ds_write_b128 v44, v[20:23] offset:48
	ds_write_b128 v44, v[28:31] offset:64
	ds_write_b128 v44, v[36:39] offset:80
	ds_write_b128 v44, v[40:43] offset:96
	ds_write_b128 v44, v[32:35] offset:112
	ds_write_b128 v44, v[24:27] offset:128
	ds_write_b128 v44, v[8:11] offset:144
	ds_write_b128 v44, v[0:3] offset:160
	s_waitcnt lgkmcnt(0)
	s_barrier
	ds_read_b128 v[4:7], v67
	ds_read_b128 v[12:15], v67 offset:2640
	ds_read_b128 v[20:23], v67 offset:19360
	;; [unrolled: 1-line block ×8, first 2 shown]
	s_movk_i32 s4, 0x6e
	v_cmp_gt_u32_e32 vcc, s4, v66
                                        ; implicit-def: $vgpr46_vgpr47
	s_and_saveexec_b64 s[4:5], vcc
	s_cbranch_execz .LBB0_15
; %bb.14:
	ds_read_b128 v[8:11], v67 offset:7920
	ds_read_b128 v[0:3], v67 offset:17600
	;; [unrolled: 1-line block ×3, first 2 shown]
.LBB0_15:
	s_or_b64 exec, exec, s[4:5]
	s_movk_i32 s4, 0x75
	v_mul_lo_u16_sdwa v48, v66, s4 dst_sel:DWORD dst_unused:UNUSED_PAD src0_sel:BYTE_0 src1_sel:DWORD
	v_sub_u16_sdwa v50, v66, v48 dst_sel:DWORD dst_unused:UNUSED_PAD src0_sel:DWORD src1_sel:BYTE_1
	v_lshrrev_b16_e32 v50, 1, v50
	v_and_b32_e32 v50, 0x7f, v50
	v_add_u32_e32 v69, 0xa5, v66
	v_add_u16_sdwa v48, v50, v48 dst_sel:DWORD dst_unused:UNUSED_PAD src0_sel:DWORD src1_sel:BYTE_1
	s_mov_b32 s4, 0xba2f
	v_lshrrev_b16_e32 v108, 3, v48
	v_mul_u32_u24_sdwa v48, v69, s4 dst_sel:DWORD dst_unused:UNUSED_PAD src0_sel:WORD_0 src1_sel:DWORD
	v_lshrrev_b32_e32 v109, 19, v48
	v_mul_lo_u16_e32 v48, 11, v109
	v_sub_u16_e32 v110, v69, v48
	v_add_u32_e32 v68, 0x14a, v66
	v_lshlrev_b32_e32 v48, 5, v110
	global_load_dwordx4 v[50:53], v48, s[12:13] offset:16
	global_load_dwordx4 v[54:57], v48, s[12:13]
	v_mul_u32_u24_sdwa v48, v68, s4 dst_sel:DWORD dst_unused:UNUSED_PAD src0_sel:WORD_0 src1_sel:DWORD
	v_lshrrev_b32_e32 v111, 19, v48
	v_mul_lo_u16_e32 v48, 11, v111
	v_sub_u16_e32 v112, v68, v48
	v_add_u32_e32 v49, 0x1ef, v66
	v_lshlrev_b32_e32 v48, 5, v112
	global_load_dwordx4 v[70:73], v48, s[12:13] offset:16
	global_load_dwordx4 v[74:77], v48, s[12:13]
	v_mul_u32_u24_sdwa v48, v49, s4 dst_sel:DWORD dst_unused:UNUSED_PAD src0_sel:WORD_0 src1_sel:DWORD
	v_lshrrev_b32_e32 v48, 19, v48
	v_mul_lo_u16_e32 v58, 11, v108
	v_mul_lo_u16_e32 v59, 11, v48
	v_sub_u16_e32 v49, v49, v59
	v_sub_u16_e32 v113, v66, v58
	v_mov_b32_e32 v58, 5
	v_lshlrev_b32_e32 v59, 5, v49
	v_lshlrev_b32_sdwa v58, v58, v113 dst_sel:DWORD dst_unused:UNUSED_PAD src0_sel:DWORD src1_sel:BYTE_0
	global_load_dwordx4 v[78:81], v59, s[12:13] offset:16
	global_load_dwordx4 v[82:85], v59, s[12:13]
	global_load_dwordx4 v[86:89], v58, s[12:13]
	global_load_dwordx4 v[90:93], v58, s[12:13] offset:16
	s_mov_b32 s4, 0xe8584caa
	s_mov_b32 s5, 0xbfebb67a
	;; [unrolled: 1-line block ×4, first 2 shown]
	s_waitcnt vmcnt(0) lgkmcnt(0)
	s_barrier
	v_mul_f64 v[94:95], v[30:31], v[52:53]
	v_mul_f64 v[58:59], v[42:43], v[56:57]
	;; [unrolled: 1-line block ×8, first 2 shown]
	v_fma_f64 v[40:41], v[40:41], v[54:55], v[58:59]
	v_fma_f64 v[42:43], v[42:43], v[54:55], -v[56:57]
	v_fma_f64 v[54:55], v[28:29], v[50:51], v[94:95]
	v_fma_f64 v[50:51], v[30:31], v[50:51], -v[52:53]
	v_fma_f64 v[52:53], v[32:33], v[70:71], v[98:99]
	v_fma_f64 v[36:37], v[36:37], v[74:75], v[96:97]
	v_mul_f64 v[102:103], v[46:47], v[80:81]
	v_mul_f64 v[100:101], v[2:3], v[84:85]
	;; [unrolled: 1-line block ×8, first 2 shown]
	v_fma_f64 v[38:39], v[38:39], v[74:75], -v[76:77]
	v_fma_f64 v[56:57], v[34:35], v[70:71], -v[72:73]
	v_fma_f64 v[28:29], v[0:1], v[82:83], v[100:101]
	v_fma_f64 v[34:35], v[2:3], v[82:83], -v[84:85]
	v_fma_f64 v[0:1], v[24:25], v[86:87], v[104:105]
	;; [unrolled: 2-line block ×4, first 2 shown]
	v_fma_f64 v[32:33], v[46:47], v[78:79], -v[80:81]
	v_add_f64 v[22:23], v[40:41], v[54:55]
	v_add_f64 v[44:45], v[42:43], -v[50:51]
	v_add_f64 v[46:47], v[14:15], v[42:43]
	v_add_f64 v[42:43], v[42:43], v[50:51]
	v_add_f64 v[70:71], v[36:37], v[52:53]
	v_add_f64 v[72:73], v[38:39], -v[56:57]
	v_add_f64 v[74:75], v[18:19], v[38:39]
	v_add_f64 v[38:39], v[38:39], v[56:57]
	;; [unrolled: 4-line block ×4, first 2 shown]
	v_add_f64 v[84:85], v[4:5], v[0:1]
	v_add_f64 v[20:21], v[12:13], v[40:41]
	v_add_f64 v[40:41], v[40:41], -v[54:55]
	v_add_f64 v[92:93], v[0:1], -v[24:25]
	v_fma_f64 v[0:1], v[22:23], -0.5, v[12:13]
	v_add_f64 v[22:23], v[46:47], v[50:51]
	v_fma_f64 v[42:43], v[42:43], -0.5, v[14:15]
	v_fma_f64 v[46:47], v[70:71], -0.5, v[16:17]
	;; [unrolled: 1-line block ×5, first 2 shown]
	v_add_f64 v[78:79], v[34:35], -v[32:33]
	v_add_f64 v[82:83], v[28:29], -v[30:31]
	v_add_f64 v[12:13], v[58:59], v[52:53]
	v_fma_f64 v[58:59], v[36:37], -0.5, v[8:9]
	v_fma_f64 v[70:71], v[80:81], -0.5, v[10:11]
	v_add_f64 v[16:17], v[84:85], v[24:25]
	v_add_f64 v[18:19], v[90:91], v[26:27]
	v_fma_f64 v[24:25], v[44:45], s[4:5], v[0:1]
	v_fma_f64 v[36:37], v[44:45], s[6:7], v[0:1]
	;; [unrolled: 1-line block ×10, first 2 shown]
	v_add_f64 v[20:21], v[20:21], v[54:55]
	v_add_f64 v[14:15], v[74:75], v[56:57]
	v_fma_f64 v[54:55], v[88:89], s[6:7], v[4:5]
	v_fma_f64 v[56:57], v[92:93], s[4:5], v[2:3]
	;; [unrolled: 1-line block ×6, first 2 shown]
	v_mov_b32_e32 v59, 4
	v_mul_u32_u24_e32 v58, 0x210, v108
	v_lshlrev_b32_sdwa v59, v59, v113 dst_sel:DWORD dst_unused:UNUSED_PAD src0_sel:DWORD src1_sel:BYTE_0
	v_add3_u32 v58, 0, v58, v59
	ds_write_b128 v58, v[16:19]
	ds_write_b128 v58, v[50:53] offset:176
	ds_write_b128 v58, v[54:57] offset:352
	v_mul_u32_u24_e32 v16, 0x210, v109
	v_lshlrev_b32_e32 v17, 4, v110
	v_add3_u32 v16, 0, v16, v17
	ds_write_b128 v16, v[20:23]
	ds_write_b128 v16, v[24:27] offset:176
	ds_write_b128 v16, v[36:39] offset:352
	v_mul_u32_u24_e32 v16, 0x210, v111
	v_lshlrev_b32_e32 v17, 4, v112
	v_add3_u32 v16, 0, v16, v17
	ds_write_b128 v16, v[12:15]
	ds_write_b128 v16, v[40:43] offset:176
	ds_write_b128 v16, v[44:47] offset:352
	s_and_saveexec_b64 s[4:5], vcc
	s_cbranch_execz .LBB0_17
; %bb.16:
	v_add_f64 v[10:11], v[10:11], v[34:35]
	v_add_f64 v[8:9], v[8:9], v[28:29]
	v_mul_lo_u16_e32 v12, 33, v48
	v_lshlrev_b32_e32 v13, 4, v49
	v_lshlrev_b32_e32 v12, 4, v12
	v_add3_u32 v12, 0, v13, v12
	v_add_f64 v[10:11], v[10:11], v[32:33]
	v_add_f64 v[8:9], v[8:9], v[30:31]
	ds_write_b128 v12, v[0:3] offset:176
	ds_write_b128 v12, v[8:11]
	ds_write_b128 v12, v[4:7] offset:352
.LBB0_17:
	s_or_b64 exec, exec, s[4:5]
	s_waitcnt lgkmcnt(0)
	s_barrier
	ds_read_b128 v[24:27], v67
	ds_read_b128 v[20:23], v67 offset:2640
	ds_read_b128 v[44:47], v67 offset:5808
	;; [unrolled: 1-line block ×9, first 2 shown]
	v_cmp_gt_u32_e32 vcc, 33, v66
                                        ; implicit-def: $vgpr18_vgpr19
                                        ; implicit-def: $vgpr14_vgpr15
                                        ; implicit-def: $vgpr10_vgpr11
	s_and_saveexec_b64 s[4:5], vcc
	s_cbranch_execz .LBB0_19
; %bb.18:
	ds_read_b128 v[0:3], v67 offset:5280
	ds_read_b128 v[4:7], v67 offset:11088
	;; [unrolled: 1-line block ×5, first 2 shown]
.LBB0_19:
	s_or_b64 exec, exec, s[4:5]
	s_movk_i32 s4, 0xf9
	v_mul_lo_u16_sdwa v70, v66, s4 dst_sel:DWORD dst_unused:UNUSED_PAD src0_sel:BYTE_0 src1_sel:DWORD
	v_lshrrev_b16_e32 v118, 13, v70
	v_mul_lo_u16_e32 v70, 33, v118
	v_sub_u16_e32 v119, v66, v70
	v_mov_b32_e32 v70, 6
	v_lshlrev_b32_sdwa v86, v70, v119 dst_sel:DWORD dst_unused:UNUSED_PAD src0_sel:DWORD src1_sel:BYTE_0
	global_load_dwordx4 v[70:73], v86, s[12:13] offset:368
	global_load_dwordx4 v[74:77], v86, s[12:13] offset:352
	;; [unrolled: 1-line block ×4, first 2 shown]
	s_mov_b32 s20, 0xf83f
	v_mul_u32_u24_sdwa v86, v69, s20 dst_sel:DWORD dst_unused:UNUSED_PAD src0_sel:WORD_0 src1_sel:DWORD
	v_lshrrev_b32_e32 v120, 21, v86
	v_mul_lo_u16_e32 v86, 33, v120
	v_sub_u16_e32 v121, v69, v86
	v_lshlrev_b32_e32 v69, 6, v121
	global_load_dwordx4 v[86:89], v69, s[12:13] offset:352
	global_load_dwordx4 v[90:93], v69, s[12:13] offset:368
	;; [unrolled: 1-line block ×4, first 2 shown]
	s_mov_b32 s8, 0x134454ff
	s_mov_b32 s9, 0xbfee6f0e
	;; [unrolled: 1-line block ×10, first 2 shown]
	s_waitcnt vmcnt(0) lgkmcnt(0)
	s_barrier
	v_mul_f64 v[104:105], v[50:51], v[72:73]
	v_mul_f64 v[102:103], v[46:47], v[76:77]
	;; [unrolled: 1-line block ×16, first 2 shown]
	v_fma_f64 v[44:45], v[44:45], v[74:75], v[102:103]
	v_fma_f64 v[46:47], v[46:47], v[74:75], -v[76:77]
	v_fma_f64 v[48:49], v[48:49], v[70:71], v[104:105]
	v_fma_f64 v[50:51], v[50:51], v[70:71], -v[72:73]
	;; [unrolled: 2-line block ×4, first 2 shown]
	v_fma_f64 v[69:70], v[28:29], v[86:87], v[110:111]
	v_fma_f64 v[73:74], v[32:33], v[90:91], v[112:113]
	v_fma_f64 v[77:78], v[36:37], v[94:95], v[114:115]
	v_fma_f64 v[71:72], v[30:31], v[86:87], -v[88:89]
	v_fma_f64 v[75:76], v[34:35], v[90:91], -v[92:93]
	;; [unrolled: 1-line block ×3, first 2 shown]
	v_fma_f64 v[81:82], v[40:41], v[98:99], v[116:117]
	v_fma_f64 v[83:84], v[42:43], v[98:99], -v[100:101]
	v_add_f64 v[28:29], v[24:25], v[44:45]
	v_add_f64 v[30:31], v[48:49], v[52:53]
	v_add_f64 v[36:37], v[44:45], -v[48:49]
	v_add_f64 v[38:39], v[56:57], -v[52:53]
	v_add_f64 v[40:41], v[44:45], v[56:57]
	v_add_f64 v[42:43], v[48:49], -v[44:45]
	v_add_f64 v[85:86], v[52:53], -v[56:57]
	v_add_f64 v[87:88], v[26:27], v[46:47]
	v_add_f64 v[89:90], v[50:51], v[54:55]
	;; [unrolled: 1-line block ×5, first 2 shown]
	v_add_f64 v[32:33], v[46:47], -v[58:59]
	v_add_f64 v[34:35], v[50:51], -v[54:55]
	;; [unrolled: 1-line block ×5, first 2 shown]
	v_add_f64 v[113:114], v[69:70], v[81:82]
	v_add_f64 v[28:29], v[28:29], v[48:49]
	v_fma_f64 v[30:31], v[30:31], -0.5, v[24:25]
	v_add_f64 v[36:37], v[36:37], v[38:39]
	v_fma_f64 v[24:25], v[40:41], -0.5, v[24:25]
	v_add_f64 v[38:39], v[42:43], v[85:86]
	v_add_f64 v[40:41], v[87:88], v[50:51]
	v_fma_f64 v[42:43], v[89:90], -0.5, v[26:27]
	v_add_f64 v[91:92], v[48:49], -v[52:53]
	v_add_f64 v[46:47], v[50:51], -v[46:47]
	;; [unrolled: 1-line block ×4, first 2 shown]
	v_fma_f64 v[26:27], v[97:98], -0.5, v[26:27]
	v_add_f64 v[50:51], v[101:102], v[73:74]
	v_fma_f64 v[85:86], v[103:104], -0.5, v[20:21]
	v_add_f64 v[48:49], v[93:94], v[95:96]
	v_fma_f64 v[89:90], v[113:114], -0.5, v[20:21]
	v_add_f64 v[20:21], v[28:29], v[52:53]
	v_fma_f64 v[28:29], v[32:33], s[8:9], v[30:31]
	v_fma_f64 v[30:31], v[32:33], s[16:17], v[30:31]
	;; [unrolled: 1-line block ×4, first 2 shown]
	v_add_f64 v[40:41], v[40:41], v[54:55]
	v_fma_f64 v[54:55], v[44:45], s[16:17], v[42:43]
	v_fma_f64 v[42:43], v[44:45], s[8:9], v[42:43]
	v_add_f64 v[107:108], v[75:76], -v[79:80]
	v_add_f64 v[109:110], v[69:70], -v[73:74]
	;; [unrolled: 1-line block ×3, first 2 shown]
	v_add_f64 v[46:47], v[46:47], v[99:100]
	v_fma_f64 v[95:96], v[91:92], s[8:9], v[26:27]
	v_fma_f64 v[97:98], v[91:92], s[16:17], v[26:27]
	v_add_f64 v[50:51], v[50:51], v[77:78]
	v_fma_f64 v[99:100], v[105:106], s[8:9], v[85:86]
	v_fma_f64 v[28:29], v[34:35], s[6:7], v[28:29]
	;; [unrolled: 1-line block ×7, first 2 shown]
	v_add_f64 v[87:88], v[109:110], v[111:112]
	v_add_f64 v[24:25], v[20:21], v[56:57]
	v_fma_f64 v[56:57], v[44:45], s[14:15], v[95:96]
	v_fma_f64 v[44:45], v[44:45], s[6:7], v[97:98]
	v_add_f64 v[20:21], v[50:51], v[81:82]
	v_fma_f64 v[50:51], v[107:108], s[6:7], v[99:100]
	v_add_f64 v[115:116], v[75:76], v[79:80]
	v_add_f64 v[26:27], v[40:41], v[58:59]
	v_fma_f64 v[28:29], v[36:37], s[4:5], v[28:29]
	v_fma_f64 v[32:33], v[36:37], s[4:5], v[30:31]
	;; [unrolled: 1-line block ×7, first 2 shown]
	v_add_f64 v[52:53], v[71:72], v[83:84]
	v_fma_f64 v[38:39], v[46:47], s[4:5], v[56:57]
	v_fma_f64 v[42:43], v[46:47], s[4:5], v[44:45]
	;; [unrolled: 1-line block ×3, first 2 shown]
	v_add_f64 v[50:51], v[73:74], -v[69:70]
	v_add_f64 v[54:55], v[77:78], -v[81:82]
	v_add_f64 v[56:57], v[22:23], v[71:72]
	v_fma_f64 v[58:59], v[115:116], -0.5, v[22:23]
	v_add_f64 v[69:70], v[69:70], -v[81:82]
	v_fma_f64 v[81:82], v[105:106], s[6:7], v[48:49]
	v_add_f64 v[48:49], v[73:74], -v[77:78]
	v_fma_f64 v[22:23], v[52:53], -0.5, v[22:23]
	v_fma_f64 v[46:47], v[105:106], s[16:17], v[85:86]
	v_add_f64 v[50:51], v[50:51], v[54:55]
	v_add_f64 v[54:55], v[56:57], v[75:76]
	v_add_f64 v[73:74], v[71:72], -v[75:76]
	v_fma_f64 v[56:57], v[69:70], s[16:17], v[58:59]
	v_add_f64 v[77:78], v[83:84], -v[79:80]
	v_add_f64 v[71:72], v[75:76], -v[71:72]
	v_fma_f64 v[85:86], v[48:49], s[8:9], v[22:23]
	v_add_f64 v[75:76], v[79:80], -v[83:84]
	v_fma_f64 v[52:53], v[107:108], s[8:9], v[89:90]
	v_fma_f64 v[58:59], v[69:70], s[8:9], v[58:59]
	;; [unrolled: 1-line block ×3, first 2 shown]
	v_add_f64 v[54:55], v[54:55], v[79:80]
	v_fma_f64 v[46:47], v[107:108], s[14:15], v[46:47]
	v_fma_f64 v[79:80], v[48:49], s[14:15], v[56:57]
	v_add_f64 v[73:74], v[73:74], v[77:78]
	v_fma_f64 v[77:78], v[69:70], s[14:15], v[85:86]
	v_add_f64 v[71:72], v[71:72], v[75:76]
	v_fma_f64 v[89:90], v[105:106], s[14:15], v[52:53]
	v_fma_f64 v[58:59], v[48:49], s[6:7], v[58:59]
	;; [unrolled: 1-line block ×3, first 2 shown]
	v_add_f64 v[22:23], v[54:55], v[83:84]
	v_fma_f64 v[48:49], v[87:88], s[4:5], v[46:47]
	v_fma_f64 v[46:47], v[73:74], s[4:5], v[79:80]
	;; [unrolled: 1-line block ×7, first 2 shown]
	v_mov_b32_e32 v70, 4
	v_mul_u32_u24_e32 v69, 0xa50, v118
	v_lshlrev_b32_sdwa v70, v70, v119 dst_sel:DWORD dst_unused:UNUSED_PAD src0_sel:DWORD src1_sel:BYTE_0
	v_add3_u32 v69, 0, v69, v70
	ds_write_b128 v69, v[24:27]
	ds_write_b128 v69, v[28:31] offset:528
	ds_write_b128 v69, v[36:39] offset:1056
	ds_write_b128 v69, v[40:43] offset:1584
	ds_write_b128 v69, v[32:35] offset:2112
	v_mul_u32_u24_e32 v24, 0xa50, v120
	v_lshlrev_b32_e32 v25, 4, v121
	v_add3_u32 v24, 0, v24, v25
	ds_write_b128 v24, v[20:23]
	ds_write_b128 v24, v[44:47] offset:528
	ds_write_b128 v24, v[52:55] offset:1056
	ds_write_b128 v24, v[56:59] offset:1584
	ds_write_b128 v24, v[48:51] offset:2112
	s_and_saveexec_b64 s[18:19], vcc
	s_cbranch_execz .LBB0_21
; %bb.20:
	v_mul_u32_u24_sdwa v20, v68, s20 dst_sel:DWORD dst_unused:UNUSED_PAD src0_sel:WORD_0 src1_sel:DWORD
	v_lshrrev_b32_e32 v20, 21, v20
	v_mul_lo_u16_e32 v20, 33, v20
	v_sub_u16_e32 v52, v68, v20
	v_lshlrev_b32_e32 v36, 6, v52
	global_load_dwordx4 v[20:23], v36, s[12:13] offset:368
	global_load_dwordx4 v[24:27], v36, s[12:13] offset:352
	global_load_dwordx4 v[28:31], v36, s[12:13] offset:384
	global_load_dwordx4 v[32:35], v36, s[12:13] offset:400
	s_waitcnt vmcnt(3)
	v_mul_f64 v[36:37], v[8:9], v[22:23]
	s_waitcnt vmcnt(2)
	v_mul_f64 v[38:39], v[4:5], v[26:27]
	;; [unrolled: 2-line block ×4, first 2 shown]
	v_mul_f64 v[22:23], v[10:11], v[22:23]
	v_mul_f64 v[30:31], v[14:15], v[30:31]
	;; [unrolled: 1-line block ×4, first 2 shown]
	v_fma_f64 v[10:11], v[10:11], v[20:21], -v[36:37]
	v_fma_f64 v[6:7], v[6:7], v[24:25], -v[38:39]
	;; [unrolled: 1-line block ×4, first 2 shown]
	v_fma_f64 v[8:9], v[8:9], v[20:21], v[22:23]
	v_fma_f64 v[12:13], v[12:13], v[28:29], v[30:31]
	;; [unrolled: 1-line block ×4, first 2 shown]
	v_add_f64 v[20:21], v[10:11], -v[6:7]
	v_add_f64 v[30:31], v[6:7], -v[10:11]
	;; [unrolled: 1-line block ×3, first 2 shown]
	v_add_f64 v[26:27], v[6:7], v[18:19]
	v_add_f64 v[32:33], v[18:19], -v[14:15]
	v_add_f64 v[34:35], v[10:11], v[14:15]
	v_add_f64 v[42:43], v[4:5], v[16:17]
	;; [unrolled: 1-line block ×4, first 2 shown]
	v_add_f64 v[28:29], v[4:5], -v[16:17]
	v_add_f64 v[38:39], v[8:9], -v[4:5]
	;; [unrolled: 1-line block ×3, first 2 shown]
	v_add_f64 v[4:5], v[0:1], v[4:5]
	v_add_f64 v[24:25], v[8:9], -v[12:13]
	v_add_f64 v[40:41], v[12:13], -v[16:17]
	;; [unrolled: 1-line block ×3, first 2 shown]
	v_add_f64 v[20:21], v[20:21], v[22:23]
	v_fma_f64 v[22:23], v[26:27], -0.5, v[2:3]
	v_add_f64 v[26:27], v[30:31], v[32:33]
	v_fma_f64 v[2:3], v[34:35], -0.5, v[2:3]
	v_fma_f64 v[32:33], v[42:43], -0.5, v[0:1]
	;; [unrolled: 1-line block ×3, first 2 shown]
	v_add_f64 v[44:45], v[10:11], -v[14:15]
	v_add_f64 v[10:11], v[36:37], v[10:11]
	v_add_f64 v[4:5], v[4:5], v[8:9]
	v_add_f64 v[48:49], v[16:17], -v[12:13]
	v_add_f64 v[30:31], v[38:39], v[40:41]
	v_fma_f64 v[8:9], v[24:25], s[16:17], v[22:23]
	v_fma_f64 v[22:23], v[24:25], s[8:9], v[22:23]
	;; [unrolled: 1-line block ×6, first 2 shown]
	v_add_f64 v[10:11], v[10:11], v[14:15]
	v_fma_f64 v[14:15], v[44:45], s[8:9], v[32:33]
	v_fma_f64 v[32:33], v[44:45], s[16:17], v[32:33]
	v_add_f64 v[4:5], v[4:5], v[12:13]
	v_add_f64 v[34:35], v[46:47], v[48:49]
	v_fma_f64 v[12:13], v[28:29], s[14:15], v[22:23]
	v_fma_f64 v[22:23], v[24:25], s[6:7], v[36:37]
	;; [unrolled: 1-line block ×8, first 2 shown]
	v_add_f64 v[2:3], v[10:11], v[18:19]
	v_add_f64 v[0:1], v[4:5], v[16:17]
	v_fma_f64 v[18:19], v[26:27], s[4:5], v[24:25]
	v_fma_f64 v[16:17], v[34:35], s[4:5], v[36:37]
	v_fma_f64 v[6:7], v[20:21], s[4:5], v[8:9]
	v_fma_f64 v[10:11], v[20:21], s[4:5], v[12:13]
	v_fma_f64 v[8:9], v[30:31], s[4:5], v[32:33]
	v_fma_f64 v[4:5], v[30:31], s[4:5], v[28:29]
	v_fma_f64 v[14:15], v[26:27], s[4:5], v[22:23]
	v_fma_f64 v[12:13], v[34:35], s[4:5], v[38:39]
	v_lshl_add_u32 v20, v52, 4, 0
	ds_write_b128 v20, v[0:3] offset:26400
	ds_write_b128 v20, v[16:19] offset:26928
	;; [unrolled: 1-line block ×5, first 2 shown]
.LBB0_21:
	s_or_b64 exec, exec, s[18:19]
	s_waitcnt lgkmcnt(0)
	s_barrier
	s_and_saveexec_b64 s[4:5], s[0:1]
	s_cbranch_execz .LBB0_23
; %bb.22:
	v_mul_u32_u24_e32 v0, 10, v66
	v_lshlrev_b32_e32 v0, 4, v0
	global_load_dwordx4 v[4:7], v0, s[12:13] offset:2528
	global_load_dwordx4 v[8:11], v0, s[12:13] offset:2544
	;; [unrolled: 1-line block ×10, first 2 shown]
	v_lshl_add_u32 v24, v66, 4, 0
	ds_read_b128 v[30:33], v67 offset:13200
	ds_read_b128 v[52:55], v67 offset:15840
	;; [unrolled: 1-line block ×6, first 2 shown]
	ds_read_b128 v[0:3], v67
	ds_read_b128 v[86:89], v67 offset:2640
	ds_read_b128 v[90:93], v67 offset:23760
	;; [unrolled: 1-line block ×4, first 2 shown]
	s_mov_b32 s20, 0xfd768dbf
	s_mov_b32 s21, 0xbfd207e7
	;; [unrolled: 1-line block ×26, first 2 shown]
	s_waitcnt vmcnt(9) lgkmcnt(10)
	v_mul_f64 v[24:25], v[6:7], v[32:33]
	s_waitcnt vmcnt(8) lgkmcnt(9)
	v_mul_f64 v[66:67], v[10:11], v[54:55]
	v_mul_f64 v[6:7], v[30:31], v[6:7]
	s_waitcnt vmcnt(7) lgkmcnt(6)
	v_mul_f64 v[84:85], v[14:15], v[74:75]
	s_waitcnt vmcnt(6)
	v_mul_f64 v[98:99], v[18:19], v[58:59]
	v_mul_f64 v[14:15], v[72:73], v[14:15]
	;; [unrolled: 1-line block ×3, first 2 shown]
	s_waitcnt vmcnt(5) lgkmcnt(0)
	v_mul_f64 v[100:101], v[22:23], v[82:83]
	v_mul_f64 v[22:23], v[80:81], v[22:23]
	s_waitcnt vmcnt(2)
	v_mul_f64 v[112:113], v[90:91], v[42:43]
	s_waitcnt vmcnt(1)
	;; [unrolled: 2-line block ×3, first 2 shown]
	v_mul_f64 v[116:117], v[50:51], v[96:97]
	v_mul_f64 v[46:47], v[86:87], v[46:47]
	;; [unrolled: 1-line block ×9, first 2 shown]
	v_fma_f64 v[38:39], v[4:5], v[30:31], v[24:25]
	v_fma_f64 v[42:43], v[4:5], v[32:33], -v[6:7]
	v_fma_f64 v[32:33], v[8:9], v[52:53], v[66:67]
	v_fma_f64 v[28:29], v[16:17], v[56:57], v[98:99]
	v_fma_f64 v[52:53], v[12:13], v[74:75], -v[14:15]
	v_fma_f64 v[30:31], v[16:17], v[58:59], -v[18:19]
	;; [unrolled: 1-line block ×4, first 2 shown]
	v_fma_f64 v[92:93], v[44:45], v[86:87], v[114:115]
	v_fma_f64 v[16:17], v[48:49], v[94:95], v[116:117]
	v_fma_f64 v[94:95], v[44:45], v[88:89], -v[46:47]
	v_fma_f64 v[18:19], v[48:49], v[96:97], -v[118:119]
	v_fma_f64 v[50:51], v[12:13], v[72:73], v[84:85]
	v_fma_f64 v[58:59], v[20:21], v[80:81], v[100:101]
	;; [unrolled: 1-line block ×4, first 2 shown]
	v_fma_f64 v[84:85], v[34:35], v[78:79], -v[110:111]
	v_add_f64 v[100:101], v[92:93], -v[16:17]
	v_fma_f64 v[24:25], v[26:27], v[68:69], v[102:103]
	v_add_f64 v[88:89], v[94:95], -v[18:19]
	v_fma_f64 v[26:27], v[26:27], v[70:71], -v[104:105]
	v_add_f64 v[70:71], v[94:95], v[18:19]
	v_add_f64 v[82:83], v[92:93], v[16:17]
	v_add_f64 v[98:99], v[80:81], -v[20:21]
	v_add_f64 v[86:87], v[84:85], -v[22:23]
	v_mul_f64 v[4:5], v[100:101], s[20:21]
	v_fma_f64 v[36:37], v[8:9], v[54:55], -v[10:11]
	v_mul_f64 v[6:7], v[88:89], s[20:21]
	v_add_f64 v[96:97], v[58:59], -v[24:25]
	v_add_f64 v[56:57], v[84:85], v[22:23]
	v_add_f64 v[78:79], v[74:75], -v[26:27]
	v_add_f64 v[76:77], v[80:81], v[20:21]
	v_mul_f64 v[10:11], v[98:99], s[22:23]
	v_mul_f64 v[14:15], v[86:87], s[22:23]
	v_fma_f64 v[106:107], v[70:71], s[18:19], v[4:5]
	v_fma_f64 v[110:111], v[82:83], s[18:19], -v[6:7]
	v_add_f64 v[48:49], v[74:75], v[26:27]
	v_add_f64 v[54:55], v[58:59], v[24:25]
	v_mul_f64 v[102:103], v[96:97], s[12:13]
	v_mul_f64 v[104:105], v[78:79], s[12:13]
	v_fma_f64 v[4:5], v[70:71], s[18:19], -v[4:5]
	v_fma_f64 v[116:117], v[56:57], s[16:17], v[10:11]
	v_add_f64 v[106:107], v[2:3], v[106:107]
	v_fma_f64 v[118:119], v[76:77], s[16:17], -v[14:15]
	v_add_f64 v[110:111], v[0:1], v[110:111]
	v_add_f64 v[90:91], v[50:51], -v[28:29]
	v_mul_f64 v[114:115], v[100:101], s[12:13]
	v_fma_f64 v[6:7], v[82:83], s[18:19], v[6:7]
	v_fma_f64 v[10:11], v[56:57], s[16:17], -v[10:11]
	v_fma_f64 v[120:121], v[48:49], s[4:5], v[102:103]
	v_add_f64 v[4:5], v[2:3], v[4:5]
	v_add_f64 v[106:107], v[116:117], v[106:107]
	v_fma_f64 v[116:117], v[54:55], s[4:5], -v[104:105]
	v_add_f64 v[110:111], v[118:119], v[110:111]
	v_add_f64 v[66:67], v[38:39], -v[32:33]
	v_add_f64 v[44:45], v[52:53], v[30:31]
	v_add_f64 v[72:73], v[52:53], -v[30:31]
	v_mul_f64 v[12:13], v[90:91], s[14:15]
	v_fma_f64 v[14:15], v[76:77], s[16:17], v[14:15]
	v_add_f64 v[6:7], v[0:1], v[6:7]
	v_add_f64 v[4:5], v[10:11], v[4:5]
	;; [unrolled: 1-line block ×4, first 2 shown]
	v_mul_f64 v[110:111], v[98:99], s[24:25]
	v_fma_f64 v[116:117], v[70:71], s[4:5], v[114:115]
	v_add_f64 v[34:35], v[42:43], v[36:37]
	v_add_f64 v[68:69], v[42:43], -v[36:37]
	v_add_f64 v[46:47], v[50:51], v[28:29]
	v_mul_f64 v[8:9], v[66:67], s[8:9]
	v_mul_f64 v[108:109], v[72:73], s[14:15]
	v_fma_f64 v[102:103], v[48:49], s[4:5], -v[102:103]
	v_fma_f64 v[118:119], v[44:45], s[6:7], v[12:13]
	v_add_f64 v[6:7], v[14:15], v[6:7]
	v_mul_f64 v[14:15], v[88:89], s[12:13]
	v_fma_f64 v[104:105], v[54:55], s[4:5], v[104:105]
	v_fma_f64 v[126:127], v[56:57], s[0:1], v[110:111]
	v_add_f64 v[116:117], v[2:3], v[116:117]
	v_mul_f64 v[128:129], v[96:97], s[26:27]
	v_add_f64 v[40:41], v[38:39], v[32:33]
	v_mul_f64 v[112:113], v[68:69], s[8:9]
	v_fma_f64 v[122:123], v[46:47], s[6:7], -v[108:109]
	v_add_f64 v[4:5], v[102:103], v[4:5]
	v_fma_f64 v[102:103], v[34:35], s[0:1], v[8:9]
	v_mul_f64 v[120:121], v[86:87], s[24:25]
	v_fma_f64 v[124:125], v[82:83], s[4:5], -v[14:15]
	v_fma_f64 v[12:13], v[44:45], s[6:7], -v[12:13]
	v_add_f64 v[10:11], v[118:119], v[10:11]
	v_add_f64 v[116:117], v[126:127], v[116:117]
	v_fma_f64 v[126:127], v[48:49], s[16:17], v[128:129]
	v_mul_f64 v[132:133], v[90:91], s[20:21]
	v_fma_f64 v[108:109], v[46:47], s[6:7], v[108:109]
	v_add_f64 v[104:105], v[104:105], v[6:7]
	v_fma_f64 v[118:119], v[40:41], s[0:1], -v[112:113]
	v_add_f64 v[106:107], v[122:123], v[106:107]
	v_fma_f64 v[122:123], v[76:77], s[0:1], -v[120:121]
	v_add_f64 v[124:125], v[0:1], v[124:125]
	v_mul_f64 v[130:131], v[78:79], s[26:27]
	v_fma_f64 v[8:9], v[34:35], s[0:1], -v[8:9]
	v_fma_f64 v[112:113], v[40:41], s[0:1], v[112:113]
	v_add_f64 v[116:117], v[126:127], v[116:117]
	v_fma_f64 v[126:127], v[44:45], s[18:19], v[132:133]
	v_add_f64 v[12:13], v[12:13], v[4:5]
	v_mul_f64 v[136:137], v[66:67], s[14:15]
	v_add_f64 v[6:7], v[102:103], v[10:11]
	v_add_f64 v[102:103], v[108:109], v[104:105]
	v_fma_f64 v[108:109], v[70:71], s[4:5], -v[114:115]
	v_add_f64 v[122:123], v[122:123], v[124:125]
	v_fma_f64 v[124:125], v[54:55], s[16:17], -v[130:131]
	v_mul_f64 v[134:135], v[72:73], s[20:21]
	v_add_f64 v[4:5], v[118:119], v[106:107]
	v_add_f64 v[106:107], v[126:127], v[116:117]
	v_fma_f64 v[116:117], v[34:35], s[6:7], v[136:137]
	v_add_f64 v[10:11], v[8:9], v[12:13]
	v_add_f64 v[8:9], v[112:113], v[102:103]
	v_fma_f64 v[12:13], v[82:83], s[4:5], v[14:15]
	v_fma_f64 v[102:103], v[56:57], s[0:1], -v[110:111]
	v_add_f64 v[108:109], v[2:3], v[108:109]
	v_mul_f64 v[112:113], v[100:101], s[8:9]
	v_add_f64 v[104:105], v[124:125], v[122:123]
	v_fma_f64 v[114:115], v[46:47], s[18:19], -v[134:135]
	v_add_f64 v[14:15], v[116:117], v[106:107]
	v_fma_f64 v[110:111], v[76:77], s[0:1], v[120:121]
	v_add_f64 v[12:13], v[0:1], v[12:13]
	v_mul_f64 v[116:117], v[98:99], s[28:29]
	v_add_f64 v[102:103], v[102:103], v[108:109]
	v_fma_f64 v[108:109], v[48:49], s[16:17], -v[128:129]
	v_fma_f64 v[120:121], v[70:71], s[0:1], v[112:113]
	v_add_f64 v[104:105], v[114:115], v[104:105]
	v_mul_f64 v[114:115], v[88:89], s[8:9]
	v_mul_f64 v[128:129], v[96:97], s[14:15]
	v_add_f64 v[12:13], v[110:111], v[12:13]
	v_fma_f64 v[126:127], v[56:57], s[18:19], v[116:117]
	v_mul_f64 v[118:119], v[68:69], s[14:15]
	v_add_f64 v[102:103], v[108:109], v[102:103]
	v_fma_f64 v[108:109], v[54:55], s[16:17], v[130:131]
	v_add_f64 v[120:121], v[2:3], v[120:121]
	v_fma_f64 v[110:111], v[82:83], s[0:1], -v[114:115]
	v_mul_f64 v[122:123], v[86:87], s[28:29]
	v_fma_f64 v[124:125], v[44:45], s[18:19], -v[132:133]
	v_fma_f64 v[134:135], v[46:47], s[18:19], v[134:135]
	v_fma_f64 v[106:107], v[40:41], s[6:7], -v[118:119]
	v_mul_f64 v[132:133], v[78:79], s[14:15]
	v_add_f64 v[12:13], v[108:109], v[12:13]
	v_fma_f64 v[108:109], v[34:35], s[6:7], -v[136:137]
	v_add_f64 v[120:121], v[126:127], v[120:121]
	v_fma_f64 v[126:127], v[48:49], s[6:7], v[128:129]
	v_mul_f64 v[136:137], v[90:91], s[26:27]
	v_add_f64 v[110:111], v[0:1], v[110:111]
	v_fma_f64 v[130:131], v[76:77], s[18:19], -v[122:123]
	v_add_f64 v[102:103], v[124:125], v[102:103]
	v_fma_f64 v[118:119], v[40:41], s[6:7], v[118:119]
	v_add_f64 v[124:125], v[134:135], v[12:13]
	v_fma_f64 v[112:113], v[70:71], s[0:1], -v[112:113]
	v_add_f64 v[120:121], v[126:127], v[120:121]
	v_fma_f64 v[126:127], v[44:45], s[16:17], v[136:137]
	v_mul_f64 v[134:135], v[66:67], s[12:13]
	s_mov_b32 s15, 0xbfed1bb4
	v_add_f64 v[110:111], v[130:131], v[110:111]
	v_fma_f64 v[130:131], v[54:55], s[6:7], -v[132:133]
	v_mul_f64 v[138:139], v[72:73], s[26:27]
	v_add_f64 v[12:13], v[106:107], v[104:105]
	v_add_f64 v[104:105], v[108:109], v[102:103]
	;; [unrolled: 1-line block ×3, first 2 shown]
	v_fma_f64 v[106:107], v[56:57], s[18:19], -v[116:117]
	v_add_f64 v[108:109], v[2:3], v[112:113]
	v_add_f64 v[112:113], v[126:127], v[120:121]
	v_fma_f64 v[116:117], v[34:35], s[4:5], v[134:135]
	v_fma_f64 v[114:115], v[82:83], s[0:1], v[114:115]
	v_mul_f64 v[118:119], v[100:101], s[14:15]
	v_add_f64 v[110:111], v[130:131], v[110:111]
	v_fma_f64 v[130:131], v[46:47], s[16:17], -v[138:139]
	v_fma_f64 v[124:125], v[48:49], s[6:7], -v[128:129]
	v_add_f64 v[106:107], v[106:107], v[108:109]
	v_mul_f64 v[126:127], v[88:89], s[14:15]
	v_fma_f64 v[122:123], v[76:77], s[18:19], v[122:123]
	v_add_f64 v[114:115], v[0:1], v[114:115]
	v_add_f64 v[108:109], v[116:117], v[112:113]
	v_fma_f64 v[112:113], v[70:71], s[6:7], v[118:119]
	v_mul_f64 v[116:117], v[98:99], s[12:13]
	v_add_f64 v[110:111], v[130:131], v[110:111]
	v_add_f64 v[106:107], v[124:125], v[106:107]
	v_fma_f64 v[124:125], v[82:83], s[6:7], -v[126:127]
	v_mul_f64 v[130:131], v[86:87], s[12:13]
	v_add_f64 v[114:115], v[122:123], v[114:115]
	v_fma_f64 v[122:123], v[54:55], s[6:7], v[132:133]
	v_add_f64 v[112:113], v[2:3], v[112:113]
	v_fma_f64 v[132:133], v[56:57], s[4:5], v[116:117]
	v_mul_f64 v[140:141], v[96:97], s[28:29]
	v_mul_f64 v[120:121], v[68:69], s[12:13]
	v_fma_f64 v[136:137], v[44:45], s[16:17], -v[136:137]
	v_add_f64 v[124:125], v[0:1], v[124:125]
	v_fma_f64 v[142:143], v[76:77], s[4:5], -v[130:131]
	v_mul_f64 v[144:145], v[78:79], s[28:29]
	v_add_f64 v[114:115], v[122:123], v[114:115]
	v_fma_f64 v[122:123], v[46:47], s[16:17], v[138:139]
	v_add_f64 v[112:113], v[132:133], v[112:113]
	v_fma_f64 v[132:133], v[48:49], s[18:19], v[140:141]
	v_mul_f64 v[138:139], v[90:91], s[24:25]
	v_fma_f64 v[128:129], v[40:41], s[4:5], -v[120:121]
	v_add_f64 v[136:137], v[136:137], v[106:107]
	v_add_f64 v[106:107], v[142:143], v[124:125]
	v_fma_f64 v[124:125], v[54:55], s[18:19], -v[144:145]
	v_add_f64 v[114:115], v[122:123], v[114:115]
	v_fma_f64 v[122:123], v[34:35], s[4:5], -v[134:135]
	v_add_f64 v[132:133], v[132:133], v[112:113]
	v_fma_f64 v[134:135], v[44:45], s[0:1], v[138:139]
	v_mul_f64 v[146:147], v[66:67], s[22:23]
	v_fma_f64 v[120:121], v[40:41], s[4:5], v[120:121]
	v_add_f64 v[94:95], v[2:3], v[94:95]
	v_add_f64 v[124:125], v[124:125], v[106:107]
	;; [unrolled: 1-line block ×6, first 2 shown]
	v_fma_f64 v[128:129], v[34:35], s[16:17], v[146:147]
	v_add_f64 v[110:111], v[120:121], v[114:115]
	v_fma_f64 v[114:115], v[70:71], s[6:7], -v[118:119]
	v_fma_f64 v[120:121], v[82:83], s[6:7], v[126:127]
	v_mul_f64 v[132:133], v[98:99], s[14:15]
	v_fma_f64 v[116:117], v[56:57], s[4:5], -v[116:117]
	v_add_f64 v[84:85], v[84:85], v[94:95]
	v_add_f64 v[80:81], v[80:81], v[92:93]
	;; [unrolled: 1-line block ×3, first 2 shown]
	v_fma_f64 v[122:123], v[76:77], s[4:5], v[130:131]
	v_add_f64 v[114:115], v[2:3], v[114:115]
	v_add_f64 v[120:121], v[0:1], v[120:121]
	v_mul_f64 v[142:143], v[72:73], s[24:25]
	v_mul_f64 v[134:135], v[96:97], s[8:9]
	v_add_f64 v[74:75], v[74:75], v[84:85]
	v_add_f64 v[58:59], v[58:59], v[80:81]
	v_mul_f64 v[88:89], v[88:89], s[26:27]
	v_mul_f64 v[100:101], v[100:101], s[26:27]
	v_add_f64 v[96:97], v[116:117], v[114:115]
	v_add_f64 v[116:117], v[122:123], v[120:121]
	v_fma_f64 v[120:121], v[54:55], s[18:19], v[144:145]
	v_mul_f64 v[86:87], v[86:87], s[14:15]
	v_add_f64 v[52:53], v[52:53], v[74:75]
	v_add_f64 v[50:51], v[50:51], v[58:59]
	v_mul_f64 v[78:79], v[78:79], s[8:9]
	v_fma_f64 v[126:127], v[70:71], s[16:17], v[100:101]
	v_fma_f64 v[70:71], v[70:71], s[16:17], -v[100:101]
	v_fma_f64 v[130:131], v[56:57], s[6:7], v[132:133]
	v_add_f64 v[94:95], v[120:121], v[116:117]
	v_fma_f64 v[116:117], v[46:47], s[0:1], v[142:143]
	v_add_f64 v[42:43], v[42:43], v[52:53]
	v_add_f64 v[38:39], v[38:39], v[50:51]
	v_fma_f64 v[50:51], v[76:77], s[6:7], -v[86:87]
	v_add_f64 v[126:127], v[2:3], v[126:127]
	v_fma_f64 v[56:57], v[56:57], s[6:7], -v[132:133]
	v_add_f64 v[2:3], v[2:3], v[70:71]
	v_fma_f64 v[70:71], v[76:77], s[6:7], v[86:87]
	v_add_f64 v[84:85], v[116:117], v[94:95]
	v_fma_f64 v[94:95], v[82:83], s[16:17], -v[88:89]
	v_fma_f64 v[82:83], v[82:83], s[16:17], v[88:89]
	v_add_f64 v[36:37], v[36:37], v[42:43]
	v_add_f64 v[32:33], v[32:33], v[38:39]
	v_fma_f64 v[148:149], v[46:47], s[0:1], -v[142:143]
	v_mul_f64 v[72:73], v[72:73], s[12:13]
	v_fma_f64 v[38:39], v[54:55], s[0:1], -v[78:79]
	v_fma_f64 v[114:115], v[48:49], s[18:19], -v[140:141]
	v_add_f64 v[52:53], v[0:1], v[94:95]
	v_add_f64 v[0:1], v[0:1], v[82:83]
	;; [unrolled: 1-line block ×3, first 2 shown]
	v_fma_f64 v[126:127], v[48:49], s[0:1], v[134:135]
	v_mul_f64 v[90:91], v[90:91], s[12:13]
	v_fma_f64 v[48:49], v[48:49], s[0:1], -v[134:135]
	v_add_f64 v[2:3], v[56:57], v[2:3]
	v_add_f64 v[30:31], v[30:31], v[36:37]
	;; [unrolled: 1-line block ×3, first 2 shown]
	v_fma_f64 v[50:51], v[54:55], s[0:1], v[78:79]
	v_add_f64 v[0:1], v[70:71], v[0:1]
	v_add_f64 v[28:29], v[28:29], v[32:33]
	;; [unrolled: 1-line block ×3, first 2 shown]
	v_mul_f64 v[124:125], v[68:69], s[22:23]
	v_mul_f64 v[68:69], v[68:69], s[20:21]
	v_fma_f64 v[32:33], v[46:47], s[4:5], -v[72:73]
	v_add_f64 v[36:37], v[38:39], v[42:43]
	v_mul_f64 v[66:67], v[66:67], s[20:21]
	v_fma_f64 v[38:39], v[44:45], s[4:5], -v[90:91]
	v_add_f64 v[2:3], v[48:49], v[2:3]
	v_fma_f64 v[42:43], v[46:47], s[4:5], v[72:73]
	v_add_f64 v[0:1], v[50:51], v[0:1]
	v_add_f64 v[26:27], v[26:27], v[30:31]
	;; [unrolled: 1-line block ×4, first 2 shown]
	v_fma_f64 v[130:131], v[44:45], s[0:1], -v[138:139]
	v_fma_f64 v[28:29], v[40:41], s[18:19], -v[68:69]
	v_add_f64 v[30:31], v[32:33], v[36:37]
	v_fma_f64 v[128:129], v[40:41], s[16:17], -v[124:125]
	v_fma_f64 v[58:59], v[34:35], s[16:17], -v[146:147]
	v_fma_f64 v[74:75], v[40:41], s[16:17], v[124:125]
	v_fma_f64 v[88:89], v[34:35], s[18:19], v[66:67]
	v_fma_f64 v[32:33], v[34:35], s[18:19], -v[66:67]
	v_add_f64 v[34:35], v[38:39], v[2:3]
	v_fma_f64 v[36:37], v[40:41], s[18:19], v[68:69]
	v_add_f64 v[38:39], v[42:43], v[0:1]
	v_add_f64 v[40:41], v[22:23], v[26:27]
	;; [unrolled: 1-line block ×3, first 2 shown]
	v_mul_lo_u32 v136, s3, v62
	v_mul_lo_u32 v137, s2, v63
	v_mad_u64_u32 v[62:63], s[2:3], s2, v62, 0
	v_add_f64 v[80:81], v[130:131], v[114:115]
	v_add_f64 v[92:93], v[126:127], v[122:123]
	v_fma_f64 v[120:121], v[44:45], s[4:5], v[90:91]
	v_add3_u32 v63, v63, v137, v136
	v_add_f64 v[20:21], v[28:29], v[30:31]
	v_lshlrev_b64 v[28:29], 4, v[62:63]
	v_add_f64 v[18:19], v[18:19], v[40:41]
	v_add_f64 v[16:17], v[16:17], v[42:43]
	v_mov_b32_e32 v30, s11
	v_add_co_u32_e32 v31, vcc, s10, v28
	v_add_f64 v[26:27], v[32:33], v[34:35]
	v_add_f64 v[24:25], v[36:37], v[38:39]
	v_addc_co_u32_e32 v30, vcc, v30, v29, vcc
	v_lshlrev_b64 v[28:29], 4, v[60:61]
	v_add_f64 v[2:3], v[58:59], v[80:81]
	v_add_f64 v[0:1], v[74:75], v[84:85]
	v_add_co_u32_e32 v31, vcc, v31, v28
	v_add_f64 v[92:93], v[120:121], v[92:93]
	v_addc_co_u32_e32 v30, vcc, v30, v29, vcc
	v_lshlrev_b64 v[28:29], 4, v[64:65]
	s_movk_i32 s0, 0x1000
	v_add_co_u32_e32 v28, vcc, v31, v28
	v_addc_co_u32_e32 v29, vcc, v30, v29, vcc
	global_store_dwordx4 v[28:29], v[16:19], off
	global_store_dwordx4 v[28:29], v[24:27], off offset:2640
	v_add_co_u32_e32 v16, vcc, s0, v28
	v_addc_co_u32_e32 v17, vcc, 0, v29, vcc
	s_movk_i32 s0, 0x2000
	global_store_dwordx4 v[16:17], v[0:3], off offset:1184
	global_store_dwordx4 v[16:17], v[110:113], off offset:3824
	v_add_co_u32_e32 v0, vcc, s0, v28
	v_add_f64 v[96:97], v[128:129], v[118:119]
	v_addc_co_u32_e32 v1, vcc, 0, v29, vcc
	s_movk_i32 s0, 0x3000
	v_add_f64 v[22:23], v[88:89], v[92:93]
	global_store_dwordx4 v[0:1], v[102:105], off offset:2368
	v_add_co_u32_e32 v0, vcc, s0, v28
	v_addc_co_u32_e32 v1, vcc, 0, v29, vcc
	s_movk_i32 s0, 0x4000
	global_store_dwordx4 v[0:1], v[8:11], off offset:912
	global_store_dwordx4 v[0:1], v[4:7], off offset:3552
	v_add_co_u32_e32 v0, vcc, s0, v28
	v_addc_co_u32_e32 v1, vcc, 0, v29, vcc
	global_store_dwordx4 v[0:1], v[12:15], off offset:2096
	v_add_co_u32_e32 v0, vcc, 0x5000, v28
	v_addc_co_u32_e32 v1, vcc, 0, v29, vcc
	global_store_dwordx4 v[0:1], v[106:109], off offset:640
	global_store_dwordx4 v[0:1], v[96:99], off offset:3280
	v_add_co_u32_e32 v0, vcc, 0x6000, v28
	v_addc_co_u32_e32 v1, vcc, 0, v29, vcc
	global_store_dwordx4 v[0:1], v[20:23], off offset:1824
.LBB0_23:
	s_endpgm
	.section	.rodata,"a",@progbits
	.p2align	6, 0x0
	.amdhsa_kernel fft_rtc_back_len1815_factors_11_3_5_11_wgs_165_tpt_165_dp_op_CI_CI_unitstride_sbrr_dirReg
		.amdhsa_group_segment_fixed_size 0
		.amdhsa_private_segment_fixed_size 0
		.amdhsa_kernarg_size 104
		.amdhsa_user_sgpr_count 6
		.amdhsa_user_sgpr_private_segment_buffer 1
		.amdhsa_user_sgpr_dispatch_ptr 0
		.amdhsa_user_sgpr_queue_ptr 0
		.amdhsa_user_sgpr_kernarg_segment_ptr 1
		.amdhsa_user_sgpr_dispatch_id 0
		.amdhsa_user_sgpr_flat_scratch_init 0
		.amdhsa_user_sgpr_private_segment_size 0
		.amdhsa_uses_dynamic_stack 0
		.amdhsa_system_sgpr_private_segment_wavefront_offset 0
		.amdhsa_system_sgpr_workgroup_id_x 1
		.amdhsa_system_sgpr_workgroup_id_y 0
		.amdhsa_system_sgpr_workgroup_id_z 0
		.amdhsa_system_sgpr_workgroup_info 0
		.amdhsa_system_vgpr_workitem_id 0
		.amdhsa_next_free_vgpr 150
		.amdhsa_next_free_sgpr 36
		.amdhsa_reserve_vcc 1
		.amdhsa_reserve_flat_scratch 0
		.amdhsa_float_round_mode_32 0
		.amdhsa_float_round_mode_16_64 0
		.amdhsa_float_denorm_mode_32 3
		.amdhsa_float_denorm_mode_16_64 3
		.amdhsa_dx10_clamp 1
		.amdhsa_ieee_mode 1
		.amdhsa_fp16_overflow 0
		.amdhsa_exception_fp_ieee_invalid_op 0
		.amdhsa_exception_fp_denorm_src 0
		.amdhsa_exception_fp_ieee_div_zero 0
		.amdhsa_exception_fp_ieee_overflow 0
		.amdhsa_exception_fp_ieee_underflow 0
		.amdhsa_exception_fp_ieee_inexact 0
		.amdhsa_exception_int_div_zero 0
	.end_amdhsa_kernel
	.text
.Lfunc_end0:
	.size	fft_rtc_back_len1815_factors_11_3_5_11_wgs_165_tpt_165_dp_op_CI_CI_unitstride_sbrr_dirReg, .Lfunc_end0-fft_rtc_back_len1815_factors_11_3_5_11_wgs_165_tpt_165_dp_op_CI_CI_unitstride_sbrr_dirReg
                                        ; -- End function
	.section	.AMDGPU.csdata,"",@progbits
; Kernel info:
; codeLenInByte = 11096
; NumSgprs: 40
; NumVgprs: 150
; ScratchSize: 0
; MemoryBound: 1
; FloatMode: 240
; IeeeMode: 1
; LDSByteSize: 0 bytes/workgroup (compile time only)
; SGPRBlocks: 4
; VGPRBlocks: 37
; NumSGPRsForWavesPerEU: 40
; NumVGPRsForWavesPerEU: 150
; Occupancy: 1
; WaveLimiterHint : 1
; COMPUTE_PGM_RSRC2:SCRATCH_EN: 0
; COMPUTE_PGM_RSRC2:USER_SGPR: 6
; COMPUTE_PGM_RSRC2:TRAP_HANDLER: 0
; COMPUTE_PGM_RSRC2:TGID_X_EN: 1
; COMPUTE_PGM_RSRC2:TGID_Y_EN: 0
; COMPUTE_PGM_RSRC2:TGID_Z_EN: 0
; COMPUTE_PGM_RSRC2:TIDIG_COMP_CNT: 0
	.type	__hip_cuid_72143432ddc88977,@object ; @__hip_cuid_72143432ddc88977
	.section	.bss,"aw",@nobits
	.globl	__hip_cuid_72143432ddc88977
__hip_cuid_72143432ddc88977:
	.byte	0                               ; 0x0
	.size	__hip_cuid_72143432ddc88977, 1

	.ident	"AMD clang version 19.0.0git (https://github.com/RadeonOpenCompute/llvm-project roc-6.4.0 25133 c7fe45cf4b819c5991fe208aaa96edf142730f1d)"
	.section	".note.GNU-stack","",@progbits
	.addrsig
	.addrsig_sym __hip_cuid_72143432ddc88977
	.amdgpu_metadata
---
amdhsa.kernels:
  - .args:
      - .actual_access:  read_only
        .address_space:  global
        .offset:         0
        .size:           8
        .value_kind:     global_buffer
      - .offset:         8
        .size:           8
        .value_kind:     by_value
      - .actual_access:  read_only
        .address_space:  global
        .offset:         16
        .size:           8
        .value_kind:     global_buffer
      - .actual_access:  read_only
        .address_space:  global
        .offset:         24
        .size:           8
        .value_kind:     global_buffer
      - .actual_access:  read_only
        .address_space:  global
        .offset:         32
        .size:           8
        .value_kind:     global_buffer
      - .offset:         40
        .size:           8
        .value_kind:     by_value
      - .actual_access:  read_only
        .address_space:  global
        .offset:         48
        .size:           8
        .value_kind:     global_buffer
      - .actual_access:  read_only
        .address_space:  global
        .offset:         56
        .size:           8
        .value_kind:     global_buffer
      - .offset:         64
        .size:           4
        .value_kind:     by_value
      - .actual_access:  read_only
        .address_space:  global
        .offset:         72
        .size:           8
        .value_kind:     global_buffer
      - .actual_access:  read_only
        .address_space:  global
        .offset:         80
        .size:           8
        .value_kind:     global_buffer
      - .actual_access:  read_only
        .address_space:  global
        .offset:         88
        .size:           8
        .value_kind:     global_buffer
      - .actual_access:  write_only
        .address_space:  global
        .offset:         96
        .size:           8
        .value_kind:     global_buffer
    .group_segment_fixed_size: 0
    .kernarg_segment_align: 8
    .kernarg_segment_size: 104
    .language:       OpenCL C
    .language_version:
      - 2
      - 0
    .max_flat_workgroup_size: 165
    .name:           fft_rtc_back_len1815_factors_11_3_5_11_wgs_165_tpt_165_dp_op_CI_CI_unitstride_sbrr_dirReg
    .private_segment_fixed_size: 0
    .sgpr_count:     40
    .sgpr_spill_count: 0
    .symbol:         fft_rtc_back_len1815_factors_11_3_5_11_wgs_165_tpt_165_dp_op_CI_CI_unitstride_sbrr_dirReg.kd
    .uniform_work_group_size: 1
    .uses_dynamic_stack: false
    .vgpr_count:     150
    .vgpr_spill_count: 0
    .wavefront_size: 64
amdhsa.target:   amdgcn-amd-amdhsa--gfx906
amdhsa.version:
  - 1
  - 2
...

	.end_amdgpu_metadata
